;; amdgpu-corpus repo=zjin-lcf/HeCBench kind=compiled arch=gfx906 opt=O3
	.amdgcn_target "amdgcn-amd-amdhsa--gfx906"
	.amdhsa_code_object_version 6
	.text
	.protected	_Z2gaPKcS0_Pcjiiii      ; -- Begin function _Z2gaPKcS0_Pcjiiii
	.globl	_Z2gaPKcS0_Pcjiiii
	.p2align	8
	.type	_Z2gaPKcS0_Pcjiiii,@function
_Z2gaPKcS0_Pcjiiii:                     ; @_Z2gaPKcS0_Pcjiiii
; %bb.0:
	s_load_dword s7, s[4:5], 0x3c
	s_load_dwordx4 s[0:3], s[4:5], 0x18
	s_waitcnt lgkmcnt(0)
	s_and_b32 s7, s7, 0xffff
	s_mul_i32 s12, s6, s7
	s_cmp_ge_i32 s1, s2
	v_add_u32_e32 v1, s12, v0
	v_cmp_ge_u32_e32 vcc, s0, v1
	s_cselect_b64 s[6:7], -1, 0
	s_and_b64 s[6:7], vcc, s[6:7]
	s_and_saveexec_b64 s[8:9], s[6:7]
	s_cbranch_execz .LBB0_10
; %bb.1:
	s_load_dwordx4 s[8:11], s[4:5], 0x0
	s_load_dwordx2 s[6:7], s[4:5], 0x10
	s_load_dword s0, s[4:5], 0x28
	s_cmp_gt_i32 s2, 0
	s_cselect_b64 s[14:15], -1, 0
	s_sub_i32 s21, s1, s2
	v_cndmask_b32_e64 v2, 0, 1, s[14:15]
	s_waitcnt lgkmcnt(0)
	s_add_i32 s12, s12, s0
	s_mov_b32 s20, 0
	s_add_i32 s21, s21, 1
	v_add_u32_e32 v0, s12, v0
	s_mov_b64 s[4:5], 0
	v_cmp_ne_u32_e64 s[0:1], 1, v2
	v_mov_b32_e32 v2, 0
                                        ; implicit-def: $sgpr12_sgpr13
                                        ; implicit-def: $sgpr14_sgpr15
	s_branch .LBB0_3
.LBB0_2:                                ;   in Loop: Header=BB0_3 Depth=1
	s_or_b64 exec, exec, s[18:19]
	s_and_b64 s[16:17], exec, s[16:17]
	s_or_b64 s[4:5], s[16:17], s[4:5]
	s_andn2_b64 s[12:13], s[12:13], exec
	s_and_b64 s[16:17], s[14:15], exec
	s_or_b64 s[12:13], s[12:13], s[16:17]
	s_andn2_b64 exec, exec, s[4:5]
	s_cbranch_execz .LBB0_8
.LBB0_3:                                ; =>This Loop Header: Depth=1
                                        ;     Child Loop BB0_5 Depth 2
	s_and_b64 vcc, exec, s[0:1]
	v_mov_b32_e32 v3, 0
	s_cbranch_vccnz .LBB0_6
; %bb.4:                                ;   in Loop: Header=BB0_3 Depth=1
	v_mov_b32_e32 v3, 0
	v_mov_b32_e32 v4, v0
	s_mov_b64 s[16:17], s[10:11]
	s_mov_b32 s18, s2
.LBB0_5:                                ;   Parent Loop BB0_3 Depth=1
                                        ; =>  This Inner Loop Header: Depth=2
	global_load_ubyte v5, v4, s[8:9]
	global_load_ubyte v6, v2, s[16:17]
	s_add_i32 s18, s18, -1
	s_add_u32 s16, s16, 1
	s_addc_u32 s17, s17, 0
	v_add_u32_e32 v4, 1, v4
	s_cmp_eq_u32 s18, 0
	s_waitcnt vmcnt(0)
	v_cmp_ne_u16_e32 vcc, v5, v6
	v_addc_co_u32_e32 v3, vcc, 0, v3, vcc
	s_cbranch_scc0 .LBB0_5
.LBB0_6:                                ;   in Loop: Header=BB0_3 Depth=1
	v_cmp_le_i32_e32 vcc, s3, v3
	s_mov_b64 s[16:17], -1
	s_or_b64 s[14:15], s[14:15], exec
	s_and_saveexec_b64 s[18:19], vcc
	s_cbranch_execz .LBB0_2
; %bb.7:                                ;   in Loop: Header=BB0_3 Depth=1
	s_add_i32 s20, s20, 1
	s_add_u32 s10, s10, 1
	s_addc_u32 s11, s11, 0
	s_cmp_eq_u32 s20, s21
	s_cselect_b64 s[16:17], -1, 0
	s_andn2_b64 s[14:15], s[14:15], exec
	s_orn2_b64 s[16:17], s[16:17], exec
	s_branch .LBB0_2
.LBB0_8:
	s_or_b64 exec, exec, s[4:5]
	s_and_saveexec_b64 s[0:1], s[12:13]
	s_xor_b64 s[0:1], exec, s[0:1]
	s_cbranch_execz .LBB0_10
; %bb.9:
	v_mov_b32_e32 v0, 1
	global_store_byte v1, v0, s[6:7]
.LBB0_10:
	s_endpgm
	.section	.rodata,"a",@progbits
	.p2align	6, 0x0
	.amdhsa_kernel _Z2gaPKcS0_Pcjiiii
		.amdhsa_group_segment_fixed_size 0
		.amdhsa_private_segment_fixed_size 0
		.amdhsa_kernarg_size 304
		.amdhsa_user_sgpr_count 6
		.amdhsa_user_sgpr_private_segment_buffer 1
		.amdhsa_user_sgpr_dispatch_ptr 0
		.amdhsa_user_sgpr_queue_ptr 0
		.amdhsa_user_sgpr_kernarg_segment_ptr 1
		.amdhsa_user_sgpr_dispatch_id 0
		.amdhsa_user_sgpr_flat_scratch_init 0
		.amdhsa_user_sgpr_private_segment_size 0
		.amdhsa_uses_dynamic_stack 0
		.amdhsa_system_sgpr_private_segment_wavefront_offset 0
		.amdhsa_system_sgpr_workgroup_id_x 1
		.amdhsa_system_sgpr_workgroup_id_y 0
		.amdhsa_system_sgpr_workgroup_id_z 0
		.amdhsa_system_sgpr_workgroup_info 0
		.amdhsa_system_vgpr_workitem_id 0
		.amdhsa_next_free_vgpr 7
		.amdhsa_next_free_sgpr 22
		.amdhsa_reserve_vcc 1
		.amdhsa_reserve_flat_scratch 0
		.amdhsa_float_round_mode_32 0
		.amdhsa_float_round_mode_16_64 0
		.amdhsa_float_denorm_mode_32 3
		.amdhsa_float_denorm_mode_16_64 3
		.amdhsa_dx10_clamp 1
		.amdhsa_ieee_mode 1
		.amdhsa_fp16_overflow 0
		.amdhsa_exception_fp_ieee_invalid_op 0
		.amdhsa_exception_fp_denorm_src 0
		.amdhsa_exception_fp_ieee_div_zero 0
		.amdhsa_exception_fp_ieee_overflow 0
		.amdhsa_exception_fp_ieee_underflow 0
		.amdhsa_exception_fp_ieee_inexact 0
		.amdhsa_exception_int_div_zero 0
	.end_amdhsa_kernel
	.text
.Lfunc_end0:
	.size	_Z2gaPKcS0_Pcjiiii, .Lfunc_end0-_Z2gaPKcS0_Pcjiiii
                                        ; -- End function
	.set _Z2gaPKcS0_Pcjiiii.num_vgpr, 7
	.set _Z2gaPKcS0_Pcjiiii.num_agpr, 0
	.set _Z2gaPKcS0_Pcjiiii.numbered_sgpr, 22
	.set _Z2gaPKcS0_Pcjiiii.num_named_barrier, 0
	.set _Z2gaPKcS0_Pcjiiii.private_seg_size, 0
	.set _Z2gaPKcS0_Pcjiiii.uses_vcc, 1
	.set _Z2gaPKcS0_Pcjiiii.uses_flat_scratch, 0
	.set _Z2gaPKcS0_Pcjiiii.has_dyn_sized_stack, 0
	.set _Z2gaPKcS0_Pcjiiii.has_recursion, 0
	.set _Z2gaPKcS0_Pcjiiii.has_indirect_call, 0
	.section	.AMDGPU.csdata,"",@progbits
; Kernel info:
; codeLenInByte = 340
; TotalNumSgprs: 26
; NumVgprs: 7
; ScratchSize: 0
; MemoryBound: 0
; FloatMode: 240
; IeeeMode: 1
; LDSByteSize: 0 bytes/workgroup (compile time only)
; SGPRBlocks: 3
; VGPRBlocks: 1
; NumSGPRsForWavesPerEU: 26
; NumVGPRsForWavesPerEU: 7
; Occupancy: 10
; WaveLimiterHint : 0
; COMPUTE_PGM_RSRC2:SCRATCH_EN: 0
; COMPUTE_PGM_RSRC2:USER_SGPR: 6
; COMPUTE_PGM_RSRC2:TRAP_HANDLER: 0
; COMPUTE_PGM_RSRC2:TGID_X_EN: 1
; COMPUTE_PGM_RSRC2:TGID_Y_EN: 0
; COMPUTE_PGM_RSRC2:TGID_Z_EN: 0
; COMPUTE_PGM_RSRC2:TIDIG_COMP_CNT: 0
	.section	.AMDGPU.gpr_maximums,"",@progbits
	.set amdgpu.max_num_vgpr, 0
	.set amdgpu.max_num_agpr, 0
	.set amdgpu.max_num_sgpr, 0
	.section	.AMDGPU.csdata,"",@progbits
	.type	__hip_cuid_651c798c406199e7,@object ; @__hip_cuid_651c798c406199e7
	.section	.bss,"aw",@nobits
	.globl	__hip_cuid_651c798c406199e7
__hip_cuid_651c798c406199e7:
	.byte	0                               ; 0x0
	.size	__hip_cuid_651c798c406199e7, 1

	.ident	"AMD clang version 22.0.0git (https://github.com/RadeonOpenCompute/llvm-project roc-7.2.4 26084 f58b06dce1f9c15707c5f808fd002e18c2accf7e)"
	.section	".note.GNU-stack","",@progbits
	.addrsig
	.addrsig_sym __hip_cuid_651c798c406199e7
	.amdgpu_metadata
---
amdhsa.kernels:
  - .args:
      - .actual_access:  read_only
        .address_space:  global
        .offset:         0
        .size:           8
        .value_kind:     global_buffer
      - .actual_access:  read_only
        .address_space:  global
        .offset:         8
        .size:           8
        .value_kind:     global_buffer
      - .actual_access:  write_only
        .address_space:  global
        .offset:         16
        .size:           8
        .value_kind:     global_buffer
      - .offset:         24
        .size:           4
        .value_kind:     by_value
      - .offset:         28
        .size:           4
        .value_kind:     by_value
      - .offset:         32
        .size:           4
        .value_kind:     by_value
      - .offset:         36
        .size:           4
        .value_kind:     by_value
      - .offset:         40
        .size:           4
        .value_kind:     by_value
      - .offset:         48
        .size:           4
        .value_kind:     hidden_block_count_x
      - .offset:         52
        .size:           4
        .value_kind:     hidden_block_count_y
      - .offset:         56
        .size:           4
        .value_kind:     hidden_block_count_z
      - .offset:         60
        .size:           2
        .value_kind:     hidden_group_size_x
      - .offset:         62
        .size:           2
        .value_kind:     hidden_group_size_y
      - .offset:         64
        .size:           2
        .value_kind:     hidden_group_size_z
      - .offset:         66
        .size:           2
        .value_kind:     hidden_remainder_x
      - .offset:         68
        .size:           2
        .value_kind:     hidden_remainder_y
      - .offset:         70
        .size:           2
        .value_kind:     hidden_remainder_z
      - .offset:         88
        .size:           8
        .value_kind:     hidden_global_offset_x
      - .offset:         96
        .size:           8
        .value_kind:     hidden_global_offset_y
      - .offset:         104
        .size:           8
        .value_kind:     hidden_global_offset_z
      - .offset:         112
        .size:           2
        .value_kind:     hidden_grid_dims
    .group_segment_fixed_size: 0
    .kernarg_segment_align: 8
    .kernarg_segment_size: 304
    .language:       OpenCL C
    .language_version:
      - 2
      - 0
    .max_flat_workgroup_size: 1024
    .name:           _Z2gaPKcS0_Pcjiiii
    .private_segment_fixed_size: 0
    .sgpr_count:     26
    .sgpr_spill_count: 0
    .symbol:         _Z2gaPKcS0_Pcjiiii.kd
    .uniform_work_group_size: 1
    .uses_dynamic_stack: false
    .vgpr_count:     7
    .vgpr_spill_count: 0
    .wavefront_size: 64
amdhsa.target:   amdgcn-amd-amdhsa--gfx906
amdhsa.version:
  - 1
  - 2
...

	.end_amdgpu_metadata
